;; amdgpu-corpus repo=ROCm/rocFFT kind=compiled arch=gfx950 opt=O3
	.text
	.amdgcn_target "amdgcn-amd-amdhsa--gfx950"
	.amdhsa_code_object_version 6
	.protected	bluestein_single_fwd_len72_dim1_dp_op_CI_CI ; -- Begin function bluestein_single_fwd_len72_dim1_dp_op_CI_CI
	.globl	bluestein_single_fwd_len72_dim1_dp_op_CI_CI
	.p2align	8
	.type	bluestein_single_fwd_len72_dim1_dp_op_CI_CI,@function
bluestein_single_fwd_len72_dim1_dp_op_CI_CI: ; @bluestein_single_fwd_len72_dim1_dp_op_CI_CI
; %bb.0:
	s_load_dwordx4 s[16:19], s[0:1], 0x28
	v_mul_u32_u24_e32 v1, 0x1c72, v0
	v_lshrrev_b32_e32 v2, 16, v1
	v_mad_u64_u32 v[118:119], s[2:3], s2, 7, v[2:3]
	v_mov_b32_e32 v123, 0
	v_mov_b32_e32 v119, v123
	s_waitcnt lgkmcnt(0)
	v_cmp_gt_u64_e32 vcc, s[16:17], v[118:119]
	s_and_saveexec_b64 s[2:3], vcc
	s_cbranch_execz .LBB0_18
; %bb.1:
	s_load_dwordx4 s[8:11], s[0:1], 0x18
	s_load_dwordx4 s[4:7], s[0:1], 0x0
	v_mul_lo_u16_e32 v1, 9, v2
	v_sub_u16_e32 v116, v0, v1
	v_mov_b32_e32 v4, s18
	s_waitcnt lgkmcnt(0)
	s_load_dwordx4 s[12:15], s[8:9], 0x0
	v_mov_b32_e32 v5, s19
	v_mov_b32_e32 v22, 0x90
	v_lshlrev_b32_e32 v122, 4, v116
	global_load_dwordx4 v[28:31], v122, s[4:5]
	s_waitcnt lgkmcnt(0)
	v_mad_u64_u32 v[0:1], s[2:3], s14, v118, 0
	v_mov_b32_e32 v2, v1
	v_mad_u64_u32 v[2:3], s[2:3], s15, v118, v[2:3]
	v_mov_b32_e32 v1, v2
	;; [unrolled: 2-line block ×4, first 2 shown]
	v_lshl_add_u64 v[0:1], v[0:1], 4, v[4:5]
	v_lshl_add_u64 v[0:1], v[2:3], 4, v[0:1]
	global_load_dwordx4 v[32:35], v[0:1], off
	v_mad_u64_u32 v[0:1], s[2:3], s12, v22, v[0:1]
	s_mul_i32 s8, s13, 0x90
	v_add_u32_e32 v1, s8, v1
	global_load_dwordx4 v[24:27], v122, s[4:5] offset:144
	global_load_dwordx4 v[36:39], v[0:1], off
	v_mad_u64_u32 v[4:5], s[2:3], s12, v22, v[0:1]
	v_add_u32_e32 v5, s8, v5
	global_load_dwordx4 v[40:43], v[4:5], off
	global_load_dwordx4 v[0:3], v122, s[4:5] offset:288
	v_mad_u64_u32 v[8:9], s[2:3], s12, v22, v[4:5]
	v_add_u32_e32 v9, s8, v9
	global_load_dwordx4 v[4:7], v122, s[4:5] offset:432
	global_load_dwordx4 v[44:47], v[8:9], off
	v_mad_u64_u32 v[12:13], s[2:3], s12, v22, v[8:9]
	v_add_u32_e32 v13, s8, v13
	global_load_dwordx4 v[48:51], v[12:13], off
	global_load_dwordx4 v[8:11], v122, s[4:5] offset:576
	v_mad_u64_u32 v[16:17], s[2:3], s12, v22, v[12:13]
	v_add_u32_e32 v17, s8, v17
	global_load_dwordx4 v[52:55], v[16:17], off
	global_load_dwordx4 v[12:15], v122, s[4:5] offset:720
	;; [unrolled: 4-line block ×3, first 2 shown]
	v_mad_u64_u32 v[64:65], s[2:3], s12, v22, v[20:21]
	v_add_u32_e32 v65, s8, v65
	global_load_dwordx4 v[20:23], v122, s[4:5] offset:1008
	global_load_dwordx4 v[60:63], v[64:65], off
	s_load_dwordx2 s[8:9], s[0:1], 0x38
	s_mov_b32 s0, 0x24924925
	v_mul_hi_u32 v64, v118, s0
	v_sub_u32_e32 v65, v118, v64
	v_lshrrev_b32_e32 v65, 1, v65
	v_add_u32_e32 v64, v65, v64
	v_lshrrev_b32_e32 v64, 2, v64
	v_mul_lo_u32 v64, v64, 7
	v_sub_u32_e32 v64, v118, v64
	v_mul_u32_u24_e32 v64, 0x48, v64
	v_lshlrev_b32_e32 v126, 4, v64
	v_add_u32_e32 v119, v122, v126
	s_load_dwordx4 s[0:3], s[10:11], 0x0
	s_mov_b32 s10, 0x667f3bcd
	s_mov_b32 s11, 0xbfe6a09e
	;; [unrolled: 1-line block ×4, first 2 shown]
	v_mov_b32_e32 v117, v123
	v_cmp_gt_u16_e32 vcc, 6, v116
                                        ; implicit-def: $vgpr88_vgpr89
	s_waitcnt vmcnt(14)
	v_mul_f64 v[64:65], v[34:35], v[30:31]
	v_mul_f64 v[66:67], v[32:33], v[30:31]
	v_fmac_f64_e32 v[64:65], v[32:33], v[28:29]
	v_fma_f64 v[66:67], v[34:35], v[28:29], -v[66:67]
	ds_write_b128 v119, v[64:67]
	s_waitcnt vmcnt(12)
	v_mul_f64 v[32:33], v[38:39], v[26:27]
	v_mul_f64 v[34:35], v[36:37], v[26:27]
	v_fmac_f64_e32 v[32:33], v[36:37], v[24:25]
	v_fma_f64 v[34:35], v[38:39], v[24:25], -v[34:35]
	ds_write_b128 v119, v[32:35] offset:144
	s_waitcnt vmcnt(10)
	v_mul_f64 v[32:33], v[42:43], v[2:3]
	v_mul_f64 v[34:35], v[40:41], v[2:3]
	v_fmac_f64_e32 v[32:33], v[40:41], v[0:1]
	v_fma_f64 v[34:35], v[42:43], v[0:1], -v[34:35]
	ds_write_b128 v119, v[32:35] offset:288
	;; [unrolled: 6-line block ×7, first 2 shown]
	s_waitcnt lgkmcnt(0)
	; wave barrier
	s_waitcnt lgkmcnt(0)
	ds_read_b128 v[32:35], v119
	ds_read_b128 v[36:39], v119 offset:144
	ds_read_b128 v[40:43], v119 offset:576
	;; [unrolled: 1-line block ×7, first 2 shown]
	s_waitcnt lgkmcnt(5)
	v_add_f64 v[42:43], v[34:35], -v[42:43]
	v_add_f64 v[40:41], v[32:33], -v[40:41]
	s_waitcnt lgkmcnt(2)
	v_add_f64 v[52:53], v[36:37], -v[52:53]
	s_waitcnt lgkmcnt(1)
	;; [unrolled: 2-line block ×3, first 2 shown]
	v_add_f64 v[60:61], v[48:49], -v[60:61]
	v_fma_f64 v[34:35], v[34:35], 2.0, -v[42:43]
	v_add_f64 v[56:57], v[44:45], -v[56:57]
	v_fma_f64 v[46:47], v[46:47], 2.0, -v[58:59]
	;; [unrolled: 2-line block ×4, first 2 shown]
	v_fma_f64 v[32:33], v[32:33], 2.0, -v[40:41]
	v_fma_f64 v[44:45], v[44:45], 2.0, -v[56:57]
	;; [unrolled: 1-line block ×4, first 2 shown]
	v_add_f64 v[66:67], v[34:35], -v[46:47]
	v_add_f64 v[48:49], v[36:37], -v[48:49]
	;; [unrolled: 1-line block ×4, first 2 shown]
	v_add_f64 v[56:57], v[42:43], v[56:57]
	v_add_f64 v[50:51], v[38:39], -v[50:51]
	v_add_f64 v[62:63], v[52:53], -v[62:63]
	v_add_f64 v[60:61], v[54:55], v[60:61]
	v_add_f64 v[82:83], v[66:67], v[48:49]
	v_fma_f64 v[46:47], v[34:35], 2.0, -v[66:67]
	v_fma_f64 v[68:69], v[40:41], 2.0, -v[58:59]
	;; [unrolled: 1-line block ×4, first 2 shown]
	v_add_f64 v[80:81], v[64:65], -v[50:51]
	v_fma_f64 v[50:51], v[66:67], 2.0, -v[82:83]
	v_fma_f64 v[66:67], s[12:13], v[60:61], v[56:57]
	v_fma_f64 v[44:45], v[32:33], 2.0, -v[64:65]
	v_fma_f64 v[70:71], v[42:43], 2.0, -v[56:57]
	;; [unrolled: 1-line block ×4, first 2 shown]
	v_fma_f64 v[40:41], s[10:11], v[52:53], v[68:69]
	v_fmac_f64_e32 v[66:67], s[12:13], v[62:63]
	v_add_f64 v[32:33], v[44:45], -v[32:33]
	v_add_f64 v[34:35], v[46:47], -v[34:35]
	v_fma_f64 v[42:43], s[10:11], v[54:55], v[70:71]
	v_fmac_f64_e32 v[40:41], s[10:11], v[54:55]
	v_fma_f64 v[48:49], v[64:65], 2.0, -v[80:81]
	v_fma_f64 v[64:65], s[12:13], v[62:63], v[58:59]
	v_fma_f64 v[54:55], v[56:57], 2.0, -v[66:67]
	v_lshlrev_b16_e32 v56, 3, v116
	v_fma_f64 v[36:37], v[44:45], 2.0, -v[32:33]
	v_fma_f64 v[38:39], v[46:47], 2.0, -v[34:35]
	v_fmac_f64_e32 v[42:43], s[12:13], v[52:53]
	v_fmac_f64_e32 v[64:65], s[10:11], v[60:61]
	v_lshl_add_u32 v127, v56, 4, v126
	v_fma_f64 v[44:45], v[68:69], 2.0, -v[40:41]
	v_fma_f64 v[46:47], v[70:71], 2.0, -v[42:43]
	;; [unrolled: 1-line block ×3, first 2 shown]
	s_waitcnt lgkmcnt(0)
	; wave barrier
	ds_write_b128 v127, v[36:39]
	ds_write_b128 v127, v[44:47] offset:16
	ds_write_b128 v127, v[48:51] offset:32
	ds_write_b128 v127, v[52:55] offset:48
	ds_write_b128 v127, v[32:35] offset:64
	ds_write_b128 v127, v[40:43] offset:80
	ds_write_b128 v127, v[80:83] offset:96
	ds_write_b128 v127, v[64:67] offset:112
	s_waitcnt lgkmcnt(0)
	; wave barrier
	s_waitcnt lgkmcnt(0)
	ds_read_b128 v[60:63], v119
	ds_read_b128 v[56:59], v119 offset:144
	ds_read_b128 v[76:79], v119 offset:384
	;; [unrolled: 1-line block ×5, first 2 shown]
	s_and_saveexec_b64 s[10:11], vcc
	s_cbranch_execz .LBB0_3
; %bb.2:
	ds_read_b128 v[80:83], v119 offset:288
	ds_read_b128 v[64:67], v119 offset:672
	;; [unrolled: 1-line block ×3, first 2 shown]
.LBB0_3:
	s_or_b64 exec, exec, s[10:11]
	v_and_b32_e32 v112, 7, v116
	v_lshl_add_u64 v[124:125], v[116:117], 0, 9
	v_lshlrev_b32_e32 v40, 5, v112
	v_and_b32_e32 v113, 7, v124
	v_lshl_add_u64 v[120:121], v[116:117], 0, 18
	global_load_dwordx4 v[36:39], v40, s[6:7]
	global_load_dwordx4 v[32:35], v40, s[6:7] offset:16
	v_lshlrev_b32_e32 v48, 5, v113
	v_and_b32_e32 v114, 7, v120
	global_load_dwordx4 v[40:43], v48, s[6:7] offset:16
	global_load_dwordx4 v[44:47], v48, s[6:7]
	v_lshlrev_b32_e32 v92, 5, v114
	global_load_dwordx4 v[52:55], v92, s[6:7]
	global_load_dwordx4 v[48:51], v92, s[6:7] offset:16
	v_lshrrev_b32_e32 v92, 3, v116
	v_mul_u32_u24_e32 v115, 24, v92
	s_mov_b32 s10, 0xe8584caa
	s_mov_b32 s11, 0x3febb67a
	;; [unrolled: 1-line block ×4, first 2 shown]
	s_waitcnt lgkmcnt(0)
	; wave barrier
	s_waitcnt lgkmcnt(0)
	v_lshl_add_u32 v125, v114, 4, v126
	s_waitcnt vmcnt(5)
	v_mul_f64 v[92:93], v[78:79], v[38:39]
	v_mul_f64 v[94:95], v[76:77], v[38:39]
	s_waitcnt vmcnt(4)
	v_mul_f64 v[96:97], v[86:87], v[34:35]
	v_mul_f64 v[98:99], v[84:85], v[34:35]
	v_fma_f64 v[76:77], v[76:77], v[36:37], -v[92:93]
	v_fmac_f64_e32 v[94:95], v[78:79], v[36:37]
	v_fma_f64 v[78:79], v[84:85], v[32:33], -v[96:97]
	v_fmac_f64_e32 v[98:99], v[86:87], v[32:33]
	s_waitcnt vmcnt(2)
	v_mul_f64 v[86:87], v[68:69], v[46:47]
	s_waitcnt vmcnt(1)
	v_mul_f64 v[102:103], v[64:65], v[54:55]
	v_mul_f64 v[84:85], v[70:71], v[46:47]
	v_mul_f64 v[92:93], v[74:75], v[42:43]
	v_mul_f64 v[96:97], v[72:73], v[42:43]
	v_mul_f64 v[100:101], v[66:67], v[54:55]
	s_waitcnt vmcnt(0)
	v_mul_f64 v[104:105], v[90:91], v[50:51]
	v_fmac_f64_e32 v[86:87], v[70:71], v[44:45]
	v_fmac_f64_e32 v[102:103], v[66:67], v[52:53]
	v_add_f64 v[66:67], v[76:77], v[78:79]
	v_mul_f64 v[106:107], v[88:89], v[50:51]
	v_fma_f64 v[68:69], v[68:69], v[44:45], -v[84:85]
	v_fma_f64 v[72:73], v[72:73], v[40:41], -v[92:93]
	v_fmac_f64_e32 v[96:97], v[74:75], v[40:41]
	v_fma_f64 v[70:71], v[64:65], v[52:53], -v[100:101]
	v_fma_f64 v[84:85], v[88:89], v[48:49], -v[104:105]
	v_add_f64 v[64:65], v[60:61], v[76:77]
	v_add_f64 v[74:75], v[94:95], -v[98:99]
	v_add_f64 v[88:89], v[62:63], v[94:95]
	v_fmac_f64_e32 v[60:61], -0.5, v[66:67]
	v_add_f64 v[92:93], v[58:59], v[86:87]
	v_fmac_f64_e32 v[106:107], v[90:91], v[48:49]
	v_add_f64 v[90:91], v[94:95], v[98:99]
	v_add_f64 v[76:77], v[76:77], -v[78:79]
	v_add_f64 v[64:65], v[64:65], v[78:79]
	v_add_f64 v[66:67], v[88:89], v[98:99]
	;; [unrolled: 1-line block ×4, first 2 shown]
	v_add_f64 v[94:95], v[68:69], -v[72:73]
	v_fma_f64 v[68:69], s[10:11], v[74:75], v[60:61]
	v_fmac_f64_e32 v[60:61], s[12:13], v[74:75]
	v_add_f64 v[74:75], v[92:93], v[96:97]
	v_or_b32_e32 v92, v115, v112
	v_fmac_f64_e32 v[62:63], -0.5, v[90:91]
	v_lshl_add_u32 v128, v92, 4, v126
	v_add_f64 v[98:99], v[80:81], v[70:71]
	v_add_f64 v[100:101], v[70:71], v[84:85]
	v_add_f64 v[110:111], v[70:71], -v[84:85]
	v_fma_f64 v[70:71], s[12:13], v[76:77], v[62:63]
	v_fmac_f64_e32 v[62:63], s[10:11], v[76:77]
	ds_write_b128 v128, v[64:67]
	ds_write_b128 v128, v[68:71] offset:128
	ds_write_b128 v128, v[60:63] offset:256
	v_lshrrev_b32_e32 v60, 3, v124
	v_add_f64 v[104:105], v[102:103], -v[106:107]
	v_add_f64 v[108:109], v[82:83], v[102:103]
	v_add_f64 v[102:103], v[102:103], v[106:107]
	v_mul_u32_u24_e32 v60, 24, v60
	v_add_f64 v[90:91], v[86:87], -v[96:97]
	v_add_f64 v[86:87], v[86:87], v[96:97]
	v_fmac_f64_e32 v[56:57], -0.5, v[88:89]
	v_fmac_f64_e32 v[80:81], -0.5, v[100:101]
	;; [unrolled: 1-line block ×3, first 2 shown]
	v_or_b32_e32 v60, v60, v113
	v_add_f64 v[72:73], v[78:79], v[72:73]
	v_fmac_f64_e32 v[58:59], -0.5, v[86:87]
	v_add_f64 v[84:85], v[98:99], v[84:85]
	v_add_f64 v[86:87], v[108:109], v[106:107]
	v_fma_f64 v[76:77], s[10:11], v[90:91], v[56:57]
	v_fmac_f64_e32 v[56:57], s[12:13], v[90:91]
	v_fma_f64 v[88:89], s[10:11], v[104:105], v[80:81]
	v_fmac_f64_e32 v[80:81], s[12:13], v[104:105]
	;; [unrolled: 2-line block ×3, first 2 shown]
	v_lshl_add_u32 v129, v60, 4, v126
	v_fma_f64 v[78:79], s[12:13], v[94:95], v[58:59]
	v_fmac_f64_e32 v[58:59], s[10:11], v[94:95]
	ds_write_b128 v129, v[72:75]
	ds_write_b128 v129, v[76:79] offset:128
	ds_write_b128 v129, v[56:59] offset:256
	s_and_saveexec_b64 s[10:11], vcc
	s_cbranch_execz .LBB0_5
; %bb.4:
	v_mov_b32_e32 v56, 0x380
	v_lshl_or_b32 v56, v120, 4, v56
	v_add_u32_e32 v56, v126, v56
	ds_write_b128 v125, v[84:87] offset:768
	ds_write_b128 v56, v[88:91]
	ds_write_b128 v125, v[80:83] offset:1024
.LBB0_5:
	s_or_b64 exec, exec, s[10:11]
	s_waitcnt lgkmcnt(0)
	; wave barrier
	s_waitcnt lgkmcnt(0)
	ds_read_b128 v[96:99], v119
	ds_read_b128 v[92:95], v119 offset:144
	ds_read_b128 v[108:111], v119 offset:384
	;; [unrolled: 1-line block ×5, first 2 shown]
	s_and_saveexec_b64 s[10:11], vcc
	s_cbranch_execz .LBB0_7
; %bb.6:
	ds_read_b128 v[84:87], v119 offset:288
	ds_read_b128 v[88:91], v119 offset:672
	;; [unrolled: 1-line block ×3, first 2 shown]
.LBB0_7:
	s_or_b64 exec, exec, s[10:11]
	v_lshlrev_b32_e32 v56, 5, v116
	global_load_dwordx4 v[68:71], v56, s[6:7] offset:256
	global_load_dwordx4 v[64:67], v56, s[6:7] offset:272
	v_lshlrev_b32_e32 v56, 5, v124
	global_load_dwordx4 v[76:79], v56, s[6:7] offset:256
	global_load_dwordx4 v[72:75], v56, s[6:7] offset:272
	v_lshl_add_u64 v[56:57], v[116:117], 0, -6
	v_cndmask_b32_e32 v57, v57, v121, vcc
	v_cndmask_b32_e32 v56, v56, v120, vcc
	v_lshlrev_b64 v[56:57], 5, v[56:57]
	v_lshl_add_u64 v[56:57], s[6:7], 0, v[56:57]
	global_load_dwordx4 v[60:63], v[56:57], off offset:256
	s_nop 0
	global_load_dwordx4 v[56:59], v[56:57], off offset:272
	s_mov_b32 s6, 0xe8584caa
	s_mov_b32 s7, 0x3febb67a
	;; [unrolled: 1-line block ×4, first 2 shown]
	v_lshl_add_u32 v117, v116, 4, v126
	v_lshl_add_u64 v[122:123], s[4:5], 0, v[122:123]
	s_waitcnt vmcnt(5) lgkmcnt(3)
	v_mul_f64 v[130:131], v[110:111], v[70:71]
	v_mul_f64 v[132:133], v[108:109], v[70:71]
	s_waitcnt vmcnt(4) lgkmcnt(1)
	v_mul_f64 v[134:135], v[114:115], v[66:67]
	v_mul_f64 v[136:137], v[112:113], v[66:67]
	s_waitcnt vmcnt(3)
	v_mul_f64 v[138:139], v[102:103], v[78:79]
	s_waitcnt vmcnt(2) lgkmcnt(0)
	v_mul_f64 v[142:143], v[106:107], v[74:75]
	v_mul_f64 v[140:141], v[100:101], v[78:79]
	;; [unrolled: 1-line block ×3, first 2 shown]
	v_fma_f64 v[108:109], v[108:109], v[68:69], -v[130:131]
	v_fmac_f64_e32 v[132:133], v[110:111], v[68:69]
	v_fma_f64 v[110:111], v[112:113], v[64:65], -v[134:135]
	v_fmac_f64_e32 v[136:137], v[114:115], v[64:65]
	v_fma_f64 v[100:101], v[100:101], v[76:77], -v[138:139]
	v_fma_f64 v[112:113], v[104:105], v[72:73], -v[142:143]
	v_fmac_f64_e32 v[140:141], v[102:103], v[76:77]
	v_fmac_f64_e32 v[144:145], v[106:107], v[72:73]
	v_add_f64 v[104:105], v[96:97], v[108:109]
	v_add_f64 v[106:107], v[108:109], v[110:111]
	v_add_f64 v[114:115], v[132:133], -v[136:137]
	v_add_f64 v[130:131], v[98:99], v[132:133]
	v_add_f64 v[132:133], v[132:133], v[136:137]
	v_add_f64 v[134:135], v[108:109], -v[110:111]
	;; [unrolled: 3-line block ×3, first 2 shown]
	s_waitcnt vmcnt(1)
	v_mul_f64 v[150:151], v[90:91], v[62:63]
	v_mul_f64 v[100:101], v[88:89], v[62:63]
	s_waitcnt vmcnt(0)
	v_mul_f64 v[152:153], v[82:83], v[58:59]
	v_mul_f64 v[102:103], v[80:81], v[58:59]
	v_add_f64 v[142:143], v[140:141], -v[144:145]
	v_add_f64 v[146:147], v[94:95], v[140:141]
	v_add_f64 v[140:141], v[140:141], v[144:145]
	v_fmac_f64_e32 v[96:97], -0.5, v[106:107]
	v_fmac_f64_e32 v[98:99], -0.5, v[132:133]
	v_fma_f64 v[88:89], v[88:89], v[60:61], -v[150:151]
	v_fmac_f64_e32 v[100:101], v[90:91], v[60:61]
	v_fma_f64 v[90:91], v[80:81], v[56:57], -v[152:153]
	v_fmac_f64_e32 v[102:103], v[82:83], v[56:57]
	v_add_f64 v[104:105], v[104:105], v[110:111]
	v_add_f64 v[106:107], v[130:131], v[136:137]
	v_fmac_f64_e32 v[92:93], -0.5, v[138:139]
	v_fmac_f64_e32 v[94:95], -0.5, v[140:141]
	v_fma_f64 v[80:81], s[6:7], v[114:115], v[96:97]
	v_fmac_f64_e32 v[96:97], s[10:11], v[114:115]
	v_fma_f64 v[82:83], s[10:11], v[134:135], v[98:99]
	v_fmac_f64_e32 v[98:99], s[6:7], v[134:135]
	v_add_f64 v[130:131], v[88:89], v[90:91]
	v_add_f64 v[132:133], v[100:101], v[102:103]
	;; [unrolled: 1-line block ×4, first 2 shown]
	v_fma_f64 v[112:113], s[6:7], v[142:143], v[92:93]
	v_fma_f64 v[114:115], s[10:11], v[148:149], v[94:95]
	ds_write_b128 v119, v[104:107]
	v_add_f64 v[104:105], v[100:101], -v[102:103]
	v_add_f64 v[106:107], v[88:89], -v[90:91]
	ds_write_b128 v117, v[80:83] offset:384
	ds_write_b128 v117, v[96:99] offset:768
	;; [unrolled: 1-line block ×4, first 2 shown]
	v_fma_f64 v[96:97], -0.5, v[130:131], v[84:85]
	v_fma_f64 v[98:99], -0.5, v[132:133], v[86:87]
	v_fmac_f64_e32 v[92:93], s[10:11], v[142:143]
	v_fmac_f64_e32 v[94:95], s[6:7], v[148:149]
	v_fma_f64 v[80:81], s[10:11], v[104:105], v[96:97]
	v_fma_f64 v[82:83], s[6:7], v[106:107], v[98:99]
	ds_write_b128 v119, v[92:95] offset:912
	s_and_saveexec_b64 s[10:11], vcc
	s_cbranch_execz .LBB0_9
; %bb.8:
	v_add_f64 v[86:87], v[86:87], v[100:101]
	v_add_f64 v[84:85], v[84:85], v[88:89]
	v_mul_f64 v[92:93], v[104:105], s[6:7]
	v_mul_f64 v[94:95], v[106:107], s[6:7]
	v_add_f64 v[86:87], v[86:87], v[102:103]
	v_add_f64 v[84:85], v[84:85], v[90:91]
	v_add_f64 v[94:95], v[98:99], -v[94:95]
	v_add_f64 v[92:93], v[92:93], v[96:97]
	ds_write_b128 v119, v[84:87] offset:288
	ds_write_b128 v117, v[92:95] offset:672
	;; [unrolled: 1-line block ×3, first 2 shown]
.LBB0_9:
	s_or_b64 exec, exec, s[10:11]
	s_waitcnt lgkmcnt(0)
	; wave barrier
	s_waitcnt lgkmcnt(0)
	global_load_dwordx4 v[84:87], v[122:123], off offset:1152
	s_add_u32 s4, s4, 0x480
	s_addc_u32 s5, s5, 0
	v_lshlrev_b32_e32 v121, 4, v116
	global_load_dwordx4 v[88:91], v121, s[4:5] offset:144
	global_load_dwordx4 v[92:95], v121, s[4:5] offset:288
	;; [unrolled: 1-line block ×7, first 2 shown]
	ds_read_b128 v[130:133], v119
	ds_read_b128 v[134:137], v119 offset:144
	ds_read_b128 v[138:141], v119 offset:432
	;; [unrolled: 1-line block ×7, first 2 shown]
	s_mov_b32 s4, 0x667f3bcd
	s_mov_b32 s5, 0xbfe6a09e
	;; [unrolled: 1-line block ×4, first 2 shown]
	s_waitcnt vmcnt(7) lgkmcnt(7)
	v_mul_f64 v[122:123], v[132:133], v[86:87]
	v_mul_f64 v[164:165], v[130:131], v[86:87]
	v_fma_f64 v[162:163], v[130:131], v[84:85], -v[122:123]
	v_fmac_f64_e32 v[164:165], v[132:133], v[84:85]
	ds_write_b128 v119, v[162:165]
	s_waitcnt vmcnt(6) lgkmcnt(7)
	v_mul_f64 v[84:85], v[136:137], v[90:91]
	v_mul_f64 v[86:87], v[134:135], v[90:91]
	s_waitcnt vmcnt(5) lgkmcnt(2)
	v_mul_f64 v[122:123], v[156:157], v[94:95]
	v_mul_f64 v[90:91], v[154:155], v[94:95]
	s_waitcnt vmcnt(4)
	v_mul_f64 v[130:131], v[140:141], v[98:99]
	v_mul_f64 v[94:95], v[138:139], v[98:99]
	s_waitcnt vmcnt(3)
	;; [unrolled: 3-line block ×4, first 2 shown]
	v_mul_f64 v[164:165], v[152:153], v[110:111]
	v_mul_f64 v[106:107], v[150:151], v[110:111]
	s_waitcnt vmcnt(0) lgkmcnt(1)
	v_mul_f64 v[166:167], v[160:161], v[114:115]
	v_mul_f64 v[110:111], v[158:159], v[114:115]
	v_fma_f64 v[84:85], v[134:135], v[88:89], -v[84:85]
	v_fmac_f64_e32 v[86:87], v[136:137], v[88:89]
	v_fma_f64 v[88:89], v[154:155], v[92:93], -v[122:123]
	v_fmac_f64_e32 v[90:91], v[156:157], v[92:93]
	;; [unrolled: 2-line block ×7, first 2 shown]
	ds_write_b128 v119, v[84:87] offset:144
	ds_write_b128 v117, v[88:91] offset:288
	;; [unrolled: 1-line block ×7, first 2 shown]
	s_waitcnt lgkmcnt(0)
	; wave barrier
	s_waitcnt lgkmcnt(0)
	ds_read_b128 v[84:87], v119
	ds_read_b128 v[88:91], v117 offset:288
	ds_read_b128 v[92:95], v119 offset:432
	;; [unrolled: 1-line block ×7, first 2 shown]
	s_waitcnt lgkmcnt(4)
	v_add_f64 v[96:97], v[84:85], -v[96:97]
	v_add_f64 v[98:99], v[86:87], -v[98:99]
	s_waitcnt lgkmcnt(2)
	v_add_f64 v[104:105], v[88:89], -v[104:105]
	v_add_f64 v[106:107], v[90:91], -v[106:107]
	;; [unrolled: 3-line block ×4, first 2 shown]
	v_fma_f64 v[92:93], v[92:93], 2.0, -v[112:113]
	v_fma_f64 v[94:95], v[94:95], 2.0, -v[114:115]
	v_add_f64 v[122:123], v[96:97], v[106:107]
	v_add_f64 v[130:131], v[98:99], -v[104:105]
	v_add_f64 v[114:115], v[100:101], v[114:115]
	v_add_f64 v[112:113], v[102:103], -v[112:113]
	v_fma_f64 v[84:85], v[84:85], 2.0, -v[96:97]
	v_fma_f64 v[86:87], v[86:87], 2.0, -v[98:99]
	;; [unrolled: 1-line block ×10, first 2 shown]
	v_add_f64 v[132:133], v[84:85], -v[88:89]
	v_add_f64 v[134:135], v[86:87], -v[90:91]
	;; [unrolled: 1-line block ×4, first 2 shown]
	v_fma_f64 v[100:101], s[4:5], v[104:105], v[96:97]
	v_fma_f64 v[102:103], s[4:5], v[106:107], v[98:99]
	v_fma_f64 v[84:85], v[84:85], 2.0, -v[132:133]
	v_fma_f64 v[86:87], v[86:87], 2.0, -v[134:135]
	;; [unrolled: 1-line block ×4, first 2 shown]
	v_fmac_f64_e32 v[100:101], s[6:7], v[106:107]
	v_fmac_f64_e32 v[102:103], s[4:5], v[104:105]
	v_add_f64 v[88:89], v[84:85], -v[88:89]
	v_add_f64 v[90:91], v[86:87], -v[90:91]
	v_fma_f64 v[104:105], v[96:97], 2.0, -v[100:101]
	v_fma_f64 v[106:107], v[98:99], 2.0, -v[102:103]
	v_fma_f64 v[96:97], s[6:7], v[114:115], v[122:123]
	v_fma_f64 v[98:99], s[6:7], v[112:113], v[130:131]
	v_fma_f64 v[92:93], v[84:85], 2.0, -v[88:89]
	v_fma_f64 v[94:95], v[86:87], 2.0, -v[90:91]
	v_add_f64 v[84:85], v[132:133], v[138:139]
	v_add_f64 v[86:87], v[134:135], -v[136:137]
	v_fmac_f64_e32 v[96:97], s[6:7], v[112:113]
	v_fmac_f64_e32 v[98:99], s[4:5], v[114:115]
	v_fma_f64 v[108:109], v[132:133], 2.0, -v[84:85]
	v_fma_f64 v[110:111], v[134:135], 2.0, -v[86:87]
	;; [unrolled: 1-line block ×4, first 2 shown]
	s_waitcnt lgkmcnt(0)
	; wave barrier
	ds_write_b128 v127, v[92:95]
	ds_write_b128 v127, v[104:107] offset:16
	ds_write_b128 v127, v[108:111] offset:32
	;; [unrolled: 1-line block ×7, first 2 shown]
	s_waitcnt lgkmcnt(0)
	; wave barrier
	s_waitcnt lgkmcnt(0)
	ds_read_b128 v[92:95], v119
	ds_read_b128 v[88:91], v119 offset:144
	ds_read_b128 v[112:115], v119 offset:384
	;; [unrolled: 1-line block ×5, first 2 shown]
	s_and_saveexec_b64 s[4:5], vcc
	s_cbranch_execz .LBB0_11
; %bb.10:
	ds_read_b128 v[84:87], v117 offset:288
	ds_read_b128 v[96:99], v119 offset:672
	;; [unrolled: 1-line block ×3, first 2 shown]
.LBB0_11:
	s_or_b64 exec, exec, s[4:5]
	s_waitcnt lgkmcnt(3)
	v_mul_f64 v[122:123], v[38:39], v[114:115]
	v_mul_f64 v[38:39], v[38:39], v[112:113]
	v_fmac_f64_e32 v[122:123], v[36:37], v[112:113]
	v_fma_f64 v[36:37], v[36:37], v[114:115], -v[38:39]
	s_waitcnt lgkmcnt(1)
	v_mul_f64 v[38:39], v[34:35], v[110:111]
	v_mul_f64 v[34:35], v[34:35], v[108:109]
	v_fmac_f64_e32 v[38:39], v[32:33], v[108:109]
	v_fma_f64 v[32:33], v[32:33], v[110:111], -v[34:35]
	v_mul_f64 v[34:35], v[46:47], v[106:107]
	v_mul_f64 v[46:47], v[46:47], v[104:105]
	v_fmac_f64_e32 v[34:35], v[44:45], v[104:105]
	v_fma_f64 v[104:105], v[44:45], v[106:107], -v[46:47]
	s_waitcnt lgkmcnt(0)
	v_mul_f64 v[106:107], v[42:43], v[102:103]
	v_mul_f64 v[42:43], v[42:43], v[100:101]
	v_fmac_f64_e32 v[106:107], v[40:41], v[100:101]
	v_fma_f64 v[100:101], v[40:41], v[102:103], -v[42:43]
	v_mul_f64 v[102:103], v[54:55], v[98:99]
	v_mul_f64 v[40:41], v[54:55], v[96:97]
	v_fmac_f64_e32 v[102:103], v[52:53], v[96:97]
	v_fma_f64 v[96:97], v[52:53], v[98:99], -v[40:41]
	v_mul_f64 v[98:99], v[50:51], v[82:83]
	v_mul_f64 v[40:41], v[50:51], v[80:81]
	v_add_f64 v[42:43], v[122:123], v[38:39]
	s_mov_b32 s4, 0xe8584caa
	v_fmac_f64_e32 v[98:99], v[48:49], v[80:81]
	v_fma_f64 v[80:81], v[48:49], v[82:83], -v[40:41]
	v_add_f64 v[40:41], v[92:93], v[122:123]
	v_fmac_f64_e32 v[92:93], -0.5, v[42:43]
	v_add_f64 v[42:43], v[36:37], -v[32:33]
	s_mov_b32 s5, 0xbfebb67a
	s_mov_b32 s7, 0x3febb67a
	;; [unrolled: 1-line block ×3, first 2 shown]
	v_fma_f64 v[44:45], s[4:5], v[42:43], v[92:93]
	v_fmac_f64_e32 v[92:93], s[6:7], v[42:43]
	v_add_f64 v[42:43], v[94:95], v[36:37]
	v_add_f64 v[42:43], v[42:43], v[32:33]
	v_add_f64 v[32:33], v[36:37], v[32:33]
	v_fmac_f64_e32 v[94:95], -0.5, v[32:33]
	v_add_f64 v[32:33], v[122:123], -v[38:39]
	v_fma_f64 v[46:47], s[6:7], v[32:33], v[94:95]
	v_fmac_f64_e32 v[94:95], s[4:5], v[32:33]
	v_add_f64 v[32:33], v[88:89], v[34:35]
	v_add_f64 v[48:49], v[32:33], v[106:107]
	v_add_f64 v[32:33], v[34:35], v[106:107]
	v_fmac_f64_e32 v[88:89], -0.5, v[32:33]
	v_add_f64 v[32:33], v[104:105], -v[100:101]
	;; [unrolled: 7-line block ×3, first 2 shown]
	v_add_f64 v[34:35], v[102:103], v[98:99]
	v_fma_f64 v[54:55], s[6:7], v[32:33], v[90:91]
	v_fmac_f64_e32 v[90:91], s[4:5], v[32:33]
	v_add_f64 v[32:33], v[102:103], v[84:85]
	v_fmac_f64_e32 v[84:85], -0.5, v[34:35]
	v_add_f64 v[34:35], v[96:97], -v[80:81]
	v_add_f64 v[40:41], v[40:41], v[38:39]
	v_fma_f64 v[36:37], s[4:5], v[34:35], v[84:85]
	v_fmac_f64_e32 v[84:85], s[6:7], v[34:35]
	v_add_f64 v[34:35], v[96:97], v[86:87]
	v_add_f64 v[38:39], v[96:97], v[80:81]
	;; [unrolled: 1-line block ×3, first 2 shown]
	v_fmac_f64_e32 v[86:87], -0.5, v[38:39]
	v_add_f64 v[80:81], v[102:103], -v[98:99]
	v_add_f64 v[32:33], v[32:33], v[98:99]
	v_fma_f64 v[38:39], s[6:7], v[80:81], v[86:87]
	v_fmac_f64_e32 v[86:87], s[4:5], v[80:81]
	s_waitcnt lgkmcnt(0)
	; wave barrier
	ds_write_b128 v128, v[40:43]
	ds_write_b128 v128, v[44:47] offset:128
	ds_write_b128 v128, v[92:95] offset:256
	ds_write_b128 v129, v[48:51]
	ds_write_b128 v129, v[52:55] offset:128
	ds_write_b128 v129, v[88:91] offset:256
	s_and_saveexec_b64 s[4:5], vcc
	s_cbranch_execz .LBB0_13
; %bb.12:
	v_mov_b32_e32 v40, 0x380
	v_lshl_or_b32 v40, v120, 4, v40
	v_add_u32_e32 v40, v126, v40
	ds_write_b128 v125, v[32:35] offset:768
	ds_write_b128 v40, v[36:39]
	ds_write_b128 v125, v[84:87] offset:1024
.LBB0_13:
	s_or_b64 exec, exec, s[4:5]
	s_waitcnt lgkmcnt(0)
	; wave barrier
	s_waitcnt lgkmcnt(0)
	ds_read_b128 v[44:47], v119
	ds_read_b128 v[40:43], v119 offset:144
	ds_read_b128 v[88:91], v119 offset:384
	;; [unrolled: 1-line block ×5, first 2 shown]
	v_add_u32_e32 v92, 0x90, v119
	s_and_saveexec_b64 s[4:5], vcc
	s_cbranch_execz .LBB0_15
; %bb.14:
	ds_read_b128 v[32:35], v117 offset:288
	ds_read_b128 v[36:39], v119 offset:672
	;; [unrolled: 1-line block ×3, first 2 shown]
.LBB0_15:
	s_or_b64 exec, exec, s[4:5]
	s_waitcnt lgkmcnt(3)
	v_mul_f64 v[94:95], v[70:71], v[90:91]
	v_mul_f64 v[70:71], v[70:71], v[88:89]
	v_fmac_f64_e32 v[94:95], v[68:69], v[88:89]
	v_fma_f64 v[68:69], v[68:69], v[90:91], -v[70:71]
	s_waitcnt lgkmcnt(1)
	v_mul_f64 v[70:71], v[66:67], v[82:83]
	v_fmac_f64_e32 v[70:71], v[64:65], v[80:81]
	v_mul_f64 v[66:67], v[66:67], v[80:81]
	v_mul_f64 v[80:81], v[78:79], v[54:55]
	v_fmac_f64_e32 v[80:81], v[76:77], v[52:53]
	v_mul_f64 v[52:53], v[78:79], v[52:53]
	s_waitcnt lgkmcnt(0)
	v_mul_f64 v[78:79], v[74:75], v[50:51]
	v_fmac_f64_e32 v[78:79], v[72:73], v[48:49]
	v_mul_f64 v[48:49], v[74:75], v[48:49]
	v_fma_f64 v[64:65], v[64:65], v[82:83], -v[66:67]
	v_fma_f64 v[72:73], v[72:73], v[50:51], -v[48:49]
	v_add_f64 v[50:51], v[94:95], v[70:71]
	s_mov_b32 s4, 0xe8584caa
	v_add_f64 v[48:49], v[44:45], v[94:95]
	v_fmac_f64_e32 v[44:45], -0.5, v[50:51]
	v_add_f64 v[50:51], v[68:69], -v[64:65]
	s_mov_b32 s5, 0xbfebb67a
	s_mov_b32 s6, s4
	v_fma_f64 v[76:77], v[76:77], v[54:55], -v[52:53]
	v_fma_f64 v[52:53], s[4:5], v[50:51], v[44:45]
	v_fmac_f64_e32 v[44:45], s[6:7], v[50:51]
	v_add_f64 v[50:51], v[46:47], v[68:69]
	v_add_f64 v[54:55], v[68:69], v[64:65]
	;; [unrolled: 1-line block ×3, first 2 shown]
	v_fmac_f64_e32 v[46:47], -0.5, v[54:55]
	v_add_f64 v[64:65], v[94:95], -v[70:71]
	v_add_f64 v[66:67], v[80:81], v[78:79]
	v_fma_f64 v[54:55], s[6:7], v[64:65], v[46:47]
	v_fmac_f64_e32 v[46:47], s[4:5], v[64:65]
	v_add_f64 v[64:65], v[40:41], v[80:81]
	v_fmac_f64_e32 v[40:41], -0.5, v[66:67]
	v_add_f64 v[66:67], v[76:77], -v[72:73]
	v_add_f64 v[48:49], v[48:49], v[70:71]
	v_fma_f64 v[68:69], s[4:5], v[66:67], v[40:41]
	v_fmac_f64_e32 v[40:41], s[6:7], v[66:67]
	v_add_f64 v[66:67], v[42:43], v[76:77]
	v_add_f64 v[70:71], v[76:77], v[72:73]
	;; [unrolled: 1-line block ×3, first 2 shown]
	v_fmac_f64_e32 v[42:43], -0.5, v[70:71]
	v_add_f64 v[72:73], v[80:81], -v[78:79]
	v_add_f64 v[64:65], v[64:65], v[78:79]
	v_fma_f64 v[70:71], s[6:7], v[72:73], v[42:43]
	v_fmac_f64_e32 v[42:43], s[4:5], v[72:73]
	ds_write_b128 v119, v[48:51]
	ds_write_b128 v117, v[52:55] offset:384
	ds_write_b128 v117, v[44:47] offset:768
	;; [unrolled: 1-line block ×5, first 2 shown]
	s_and_saveexec_b64 s[10:11], vcc
	s_cbranch_execz .LBB0_17
; %bb.16:
	v_mul_f64 v[40:41], v[62:63], v[36:37]
	v_fma_f64 v[42:43], v[60:61], v[38:39], -v[40:41]
	v_mul_f64 v[40:41], v[58:59], v[84:85]
	v_fma_f64 v[46:47], v[56:57], v[86:87], -v[40:41]
	v_add_f64 v[40:41], v[42:43], v[46:47]
	v_mul_f64 v[48:49], v[62:63], v[38:39]
	v_mul_f64 v[50:51], v[58:59], v[86:87]
	v_fma_f64 v[40:41], -0.5, v[40:41], v[34:35]
	v_fmac_f64_e32 v[48:49], v[60:61], v[36:37]
	v_fmac_f64_e32 v[50:51], v[56:57], v[84:85]
	v_add_f64 v[34:35], v[42:43], v[34:35]
	v_add_f64 v[38:39], v[48:49], -v[50:51]
	v_add_f64 v[44:45], v[46:47], v[34:35]
	v_add_f64 v[34:35], v[48:49], v[50:51]
	v_fma_f64 v[36:37], s[4:5], v[38:39], v[40:41]
	v_fmac_f64_e32 v[40:41], s[6:7], v[38:39]
	v_fma_f64 v[38:39], -0.5, v[34:35], v[32:33]
	v_add_f64 v[42:43], v[42:43], -v[46:47]
	v_add_f64 v[32:33], v[48:49], v[32:33]
	v_fma_f64 v[34:35], s[6:7], v[42:43], v[38:39]
	v_fmac_f64_e32 v[38:39], s[4:5], v[42:43]
	v_add_f64 v[42:43], v[32:33], v[50:51]
	ds_write_b128 v117, v[42:45] offset:288
	ds_write_b128 v117, v[38:41] offset:672
	;; [unrolled: 1-line block ×3, first 2 shown]
.LBB0_17:
	s_or_b64 exec, exec, s[10:11]
	s_waitcnt lgkmcnt(0)
	; wave barrier
	s_waitcnt lgkmcnt(0)
	ds_read_b128 v[32:35], v119
	v_mad_u64_u32 v[46:47], s[4:5], s2, v118, 0
	v_mov_b32_e32 v36, v47
	v_mad_u64_u32 v[36:37], s[2:3], s3, v118, v[36:37]
	v_mov_b32_e32 v47, v36
	ds_read_b128 v[36:39], v119 offset:144
	s_waitcnt lgkmcnt(1)
	v_mul_f64 v[40:41], v[30:31], v[34:35]
	s_mov_b32 s2, 0x1c71c71c
	v_mul_f64 v[30:31], v[30:31], v[32:33]
	v_fmac_f64_e32 v[40:41], v[28:29], v[32:33]
	s_mov_b32 s3, 0x3f8c71c7
	v_fma_f64 v[28:29], v[28:29], v[34:35], -v[30:31]
	v_mul_f64 v[42:43], v[28:29], s[2:3]
	v_mad_u64_u32 v[28:29], s[4:5], s0, v116, 0
	v_mov_b32_e32 v30, v29
	v_mov_b32_e32 v44, s8
	;; [unrolled: 1-line block ×3, first 2 shown]
	v_mad_u64_u32 v[30:31], s[4:5], s1, v116, v[30:31]
	v_mov_b32_e32 v29, v30
	v_lshl_add_u64 v[30:31], v[46:47], 4, v[44:45]
	v_lshl_add_u64 v[32:33], v[28:29], 4, v[30:31]
	s_waitcnt lgkmcnt(0)
	v_mul_f64 v[28:29], v[26:27], v[38:39]
	v_mul_f64 v[26:27], v[26:27], v[36:37]
	v_fmac_f64_e32 v[28:29], v[24:25], v[36:37]
	v_fma_f64 v[24:25], v[24:25], v[38:39], -v[26:27]
	v_mul_f64 v[30:31], v[24:25], s[2:3]
	ds_read_b128 v[24:27], v117 offset:288
	v_mov_b32_e32 v38, 0x90
	v_mad_u64_u32 v[36:37], s[4:5], s0, v38, v[32:33]
	s_mul_i32 s6, s1, 0x90
	v_mul_f64 v[40:41], v[40:41], s[2:3]
	v_mul_f64 v[28:29], v[28:29], s[2:3]
	v_add_u32_e32 v37, s6, v37
	global_store_dwordx4 v[32:33], v[40:43], off
	global_store_dwordx4 v[36:37], v[28:31], off
	ds_read_b128 v[28:31], v119 offset:1008
	s_waitcnt lgkmcnt(1)
	v_mul_f64 v[32:33], v[2:3], v[26:27]
	v_mul_f64 v[2:3], v[2:3], v[24:25]
	v_fmac_f64_e32 v[32:33], v[0:1], v[24:25]
	v_fma_f64 v[0:1], v[0:1], v[26:27], -v[2:3]
	v_mul_f64 v[34:35], v[0:1], s[2:3]
	ds_read_b128 v[0:3], v119 offset:432
	ds_read_b128 v[24:27], v119 offset:576
	v_mad_u64_u32 v[36:37], s[4:5], s0, v38, v[36:37]
	v_mul_f64 v[32:33], v[32:33], s[2:3]
	v_add_u32_e32 v37, s6, v37
	global_store_dwordx4 v[36:37], v[32:35], off
	v_mad_u64_u32 v[36:37], s[4:5], s0, v38, v[36:37]
	s_waitcnt lgkmcnt(1)
	v_mul_f64 v[32:33], v[6:7], v[2:3]
	v_fmac_f64_e32 v[32:33], v[4:5], v[0:1]
	v_mul_f64 v[0:1], v[6:7], v[0:1]
	v_fma_f64 v[0:1], v[4:5], v[2:3], -v[0:1]
	v_mul_f64 v[34:35], v[0:1], s[2:3]
	v_add_u32_e32 v37, s6, v37
	s_waitcnt lgkmcnt(0)
	v_mul_f64 v[0:1], v[10:11], v[26:27]
	v_mul_f64 v[2:3], v[10:11], v[24:25]
	ds_read_b128 v[4:7], v119 offset:720
	v_fmac_f64_e32 v[0:1], v[8:9], v[24:25]
	v_fma_f64 v[2:3], v[8:9], v[26:27], -v[2:3]
	v_mad_u64_u32 v[24:25], s[4:5], s0, v38, v[36:37]
	v_mul_f64 v[32:33], v[32:33], s[2:3]
	v_mul_f64 v[0:1], v[0:1], s[2:3]
	;; [unrolled: 1-line block ×3, first 2 shown]
	v_add_u32_e32 v25, s6, v25
	global_store_dwordx4 v[36:37], v[32:35], off
	global_store_dwordx4 v[24:25], v[0:3], off
	ds_read_b128 v[0:3], v119 offset:864
	s_waitcnt lgkmcnt(1)
	v_mul_f64 v[8:9], v[14:15], v[6:7]
	v_fmac_f64_e32 v[8:9], v[12:13], v[4:5]
	v_mul_f64 v[4:5], v[14:15], v[4:5]
	v_fma_f64 v[4:5], v[12:13], v[6:7], -v[4:5]
	v_mul_f64 v[10:11], v[4:5], s[2:3]
	v_mad_u64_u32 v[12:13], s[4:5], s0, v38, v[24:25]
	s_waitcnt lgkmcnt(0)
	v_mul_f64 v[4:5], v[18:19], v[2:3]
	v_mul_f64 v[8:9], v[8:9], s[2:3]
	v_add_u32_e32 v13, s6, v13
	v_fmac_f64_e32 v[4:5], v[16:17], v[0:1]
	v_mul_f64 v[0:1], v[18:19], v[0:1]
	global_store_dwordx4 v[12:13], v[8:11], off
	v_fma_f64 v[0:1], v[16:17], v[2:3], -v[0:1]
	v_mul_f64 v[4:5], v[4:5], s[2:3]
	v_mad_u64_u32 v[8:9], s[4:5], s0, v38, v[12:13]
	v_mul_f64 v[6:7], v[0:1], s[2:3]
	v_add_u32_e32 v9, s6, v9
	v_mul_f64 v[0:1], v[22:23], v[30:31]
	v_mul_f64 v[2:3], v[22:23], v[28:29]
	global_store_dwordx4 v[8:9], v[4:7], off
	v_fmac_f64_e32 v[0:1], v[20:21], v[28:29]
	v_fma_f64 v[2:3], v[20:21], v[30:31], -v[2:3]
	v_mad_u64_u32 v[4:5], s[0:1], s0, v38, v[8:9]
	v_mul_f64 v[0:1], v[0:1], s[2:3]
	v_mul_f64 v[2:3], v[2:3], s[2:3]
	v_add_u32_e32 v5, s6, v5
	global_store_dwordx4 v[4:5], v[0:3], off
.LBB0_18:
	s_endpgm
	.section	.rodata,"a",@progbits
	.p2align	6, 0x0
	.amdhsa_kernel bluestein_single_fwd_len72_dim1_dp_op_CI_CI
		.amdhsa_group_segment_fixed_size 8064
		.amdhsa_private_segment_fixed_size 0
		.amdhsa_kernarg_size 104
		.amdhsa_user_sgpr_count 2
		.amdhsa_user_sgpr_dispatch_ptr 0
		.amdhsa_user_sgpr_queue_ptr 0
		.amdhsa_user_sgpr_kernarg_segment_ptr 1
		.amdhsa_user_sgpr_dispatch_id 0
		.amdhsa_user_sgpr_kernarg_preload_length 0
		.amdhsa_user_sgpr_kernarg_preload_offset 0
		.amdhsa_user_sgpr_private_segment_size 0
		.amdhsa_uses_dynamic_stack 0
		.amdhsa_enable_private_segment 0
		.amdhsa_system_sgpr_workgroup_id_x 1
		.amdhsa_system_sgpr_workgroup_id_y 0
		.amdhsa_system_sgpr_workgroup_id_z 0
		.amdhsa_system_sgpr_workgroup_info 0
		.amdhsa_system_vgpr_workitem_id 0
		.amdhsa_next_free_vgpr 168
		.amdhsa_next_free_sgpr 20
		.amdhsa_accum_offset 168
		.amdhsa_reserve_vcc 1
		.amdhsa_float_round_mode_32 0
		.amdhsa_float_round_mode_16_64 0
		.amdhsa_float_denorm_mode_32 3
		.amdhsa_float_denorm_mode_16_64 3
		.amdhsa_dx10_clamp 1
		.amdhsa_ieee_mode 1
		.amdhsa_fp16_overflow 0
		.amdhsa_tg_split 0
		.amdhsa_exception_fp_ieee_invalid_op 0
		.amdhsa_exception_fp_denorm_src 0
		.amdhsa_exception_fp_ieee_div_zero 0
		.amdhsa_exception_fp_ieee_overflow 0
		.amdhsa_exception_fp_ieee_underflow 0
		.amdhsa_exception_fp_ieee_inexact 0
		.amdhsa_exception_int_div_zero 0
	.end_amdhsa_kernel
	.text
.Lfunc_end0:
	.size	bluestein_single_fwd_len72_dim1_dp_op_CI_CI, .Lfunc_end0-bluestein_single_fwd_len72_dim1_dp_op_CI_CI
                                        ; -- End function
	.section	.AMDGPU.csdata,"",@progbits
; Kernel info:
; codeLenInByte = 6204
; NumSgprs: 26
; NumVgprs: 168
; NumAgprs: 0
; TotalNumVgprs: 168
; ScratchSize: 0
; MemoryBound: 0
; FloatMode: 240
; IeeeMode: 1
; LDSByteSize: 8064 bytes/workgroup (compile time only)
; SGPRBlocks: 3
; VGPRBlocks: 20
; NumSGPRsForWavesPerEU: 26
; NumVGPRsForWavesPerEU: 168
; AccumOffset: 168
; Occupancy: 3
; WaveLimiterHint : 1
; COMPUTE_PGM_RSRC2:SCRATCH_EN: 0
; COMPUTE_PGM_RSRC2:USER_SGPR: 2
; COMPUTE_PGM_RSRC2:TRAP_HANDLER: 0
; COMPUTE_PGM_RSRC2:TGID_X_EN: 1
; COMPUTE_PGM_RSRC2:TGID_Y_EN: 0
; COMPUTE_PGM_RSRC2:TGID_Z_EN: 0
; COMPUTE_PGM_RSRC2:TIDIG_COMP_CNT: 0
; COMPUTE_PGM_RSRC3_GFX90A:ACCUM_OFFSET: 41
; COMPUTE_PGM_RSRC3_GFX90A:TG_SPLIT: 0
	.text
	.p2alignl 6, 3212836864
	.fill 256, 4, 3212836864
	.type	__hip_cuid_7a40432c44f56c69,@object ; @__hip_cuid_7a40432c44f56c69
	.section	.bss,"aw",@nobits
	.globl	__hip_cuid_7a40432c44f56c69
__hip_cuid_7a40432c44f56c69:
	.byte	0                               ; 0x0
	.size	__hip_cuid_7a40432c44f56c69, 1

	.ident	"AMD clang version 19.0.0git (https://github.com/RadeonOpenCompute/llvm-project roc-6.4.0 25133 c7fe45cf4b819c5991fe208aaa96edf142730f1d)"
	.section	".note.GNU-stack","",@progbits
	.addrsig
	.addrsig_sym __hip_cuid_7a40432c44f56c69
	.amdgpu_metadata
---
amdhsa.kernels:
  - .agpr_count:     0
    .args:
      - .actual_access:  read_only
        .address_space:  global
        .offset:         0
        .size:           8
        .value_kind:     global_buffer
      - .actual_access:  read_only
        .address_space:  global
        .offset:         8
        .size:           8
        .value_kind:     global_buffer
      - .actual_access:  read_only
        .address_space:  global
        .offset:         16
        .size:           8
        .value_kind:     global_buffer
      - .actual_access:  read_only
        .address_space:  global
        .offset:         24
        .size:           8
        .value_kind:     global_buffer
      - .actual_access:  read_only
        .address_space:  global
        .offset:         32
        .size:           8
        .value_kind:     global_buffer
      - .offset:         40
        .size:           8
        .value_kind:     by_value
      - .address_space:  global
        .offset:         48
        .size:           8
        .value_kind:     global_buffer
      - .address_space:  global
        .offset:         56
        .size:           8
        .value_kind:     global_buffer
      - .address_space:  global
        .offset:         64
        .size:           8
        .value_kind:     global_buffer
      - .address_space:  global
        .offset:         72
        .size:           8
        .value_kind:     global_buffer
      - .offset:         80
        .size:           4
        .value_kind:     by_value
      - .address_space:  global
        .offset:         88
        .size:           8
        .value_kind:     global_buffer
      - .address_space:  global
        .offset:         96
        .size:           8
        .value_kind:     global_buffer
    .group_segment_fixed_size: 8064
    .kernarg_segment_align: 8
    .kernarg_segment_size: 104
    .language:       OpenCL C
    .language_version:
      - 2
      - 0
    .max_flat_workgroup_size: 63
    .name:           bluestein_single_fwd_len72_dim1_dp_op_CI_CI
    .private_segment_fixed_size: 0
    .sgpr_count:     26
    .sgpr_spill_count: 0
    .symbol:         bluestein_single_fwd_len72_dim1_dp_op_CI_CI.kd
    .uniform_work_group_size: 1
    .uses_dynamic_stack: false
    .vgpr_count:     168
    .vgpr_spill_count: 0
    .wavefront_size: 64
amdhsa.target:   amdgcn-amd-amdhsa--gfx950
amdhsa.version:
  - 1
  - 2
...

	.end_amdgpu_metadata
